;; amdgpu-corpus repo=ROCm/rocFFT kind=compiled arch=gfx1030 opt=O3
	.text
	.amdgcn_target "amdgcn-amd-amdhsa--gfx1030"
	.amdhsa_code_object_version 6
	.protected	fft_rtc_back_len1100_factors_2_2_11_5_5_wgs_110_tpt_110_half_ip_CI_unitstride_sbrr_C2R_dirReg ; -- Begin function fft_rtc_back_len1100_factors_2_2_11_5_5_wgs_110_tpt_110_half_ip_CI_unitstride_sbrr_C2R_dirReg
	.globl	fft_rtc_back_len1100_factors_2_2_11_5_5_wgs_110_tpt_110_half_ip_CI_unitstride_sbrr_C2R_dirReg
	.p2align	8
	.type	fft_rtc_back_len1100_factors_2_2_11_5_5_wgs_110_tpt_110_half_ip_CI_unitstride_sbrr_C2R_dirReg,@function
fft_rtc_back_len1100_factors_2_2_11_5_5_wgs_110_tpt_110_half_ip_CI_unitstride_sbrr_C2R_dirReg: ; @fft_rtc_back_len1100_factors_2_2_11_5_5_wgs_110_tpt_110_half_ip_CI_unitstride_sbrr_C2R_dirReg
; %bb.0:
	s_clause 0x2
	s_load_dwordx4 s[8:11], s[4:5], 0x0
	s_load_dwordx2 s[2:3], s[4:5], 0x50
	s_load_dwordx2 s[12:13], s[4:5], 0x18
	v_mul_u32_u24_e32 v1, 0x254, v0
	v_mov_b32_e32 v3, 0
	v_add_nc_u32_sdwa v5, s6, v1 dst_sel:DWORD dst_unused:UNUSED_PAD src0_sel:DWORD src1_sel:WORD_1
	v_mov_b32_e32 v1, 0
	v_mov_b32_e32 v6, v3
	v_mov_b32_e32 v2, 0
	s_waitcnt lgkmcnt(0)
	v_cmp_lt_u64_e64 s0, s[10:11], 2
	s_and_b32 vcc_lo, exec_lo, s0
	s_cbranch_vccnz .LBB0_8
; %bb.1:
	s_load_dwordx2 s[0:1], s[4:5], 0x10
	v_mov_b32_e32 v1, 0
	s_add_u32 s6, s12, 8
	v_mov_b32_e32 v2, 0
	s_addc_u32 s7, s13, 0
	s_mov_b64 s[16:17], 1
	s_waitcnt lgkmcnt(0)
	s_add_u32 s14, s0, 8
	s_addc_u32 s15, s1, 0
.LBB0_2:                                ; =>This Inner Loop Header: Depth=1
	s_load_dwordx2 s[18:19], s[14:15], 0x0
                                        ; implicit-def: $vgpr7_vgpr8
	s_mov_b32 s0, exec_lo
	s_waitcnt lgkmcnt(0)
	v_or_b32_e32 v4, s19, v6
	v_cmpx_ne_u64_e32 0, v[3:4]
	s_xor_b32 s1, exec_lo, s0
	s_cbranch_execz .LBB0_4
; %bb.3:                                ;   in Loop: Header=BB0_2 Depth=1
	v_cvt_f32_u32_e32 v4, s18
	v_cvt_f32_u32_e32 v7, s19
	s_sub_u32 s0, 0, s18
	s_subb_u32 s20, 0, s19
	v_fmac_f32_e32 v4, 0x4f800000, v7
	v_rcp_f32_e32 v4, v4
	v_mul_f32_e32 v4, 0x5f7ffffc, v4
	v_mul_f32_e32 v7, 0x2f800000, v4
	v_trunc_f32_e32 v7, v7
	v_fmac_f32_e32 v4, 0xcf800000, v7
	v_cvt_u32_f32_e32 v7, v7
	v_cvt_u32_f32_e32 v4, v4
	v_mul_lo_u32 v8, s0, v7
	v_mul_hi_u32 v9, s0, v4
	v_mul_lo_u32 v10, s20, v4
	v_add_nc_u32_e32 v8, v9, v8
	v_mul_lo_u32 v9, s0, v4
	v_add_nc_u32_e32 v8, v8, v10
	v_mul_hi_u32 v10, v4, v9
	v_mul_lo_u32 v11, v4, v8
	v_mul_hi_u32 v12, v4, v8
	v_mul_hi_u32 v13, v7, v9
	v_mul_lo_u32 v9, v7, v9
	v_mul_hi_u32 v14, v7, v8
	v_mul_lo_u32 v8, v7, v8
	v_add_co_u32 v10, vcc_lo, v10, v11
	v_add_co_ci_u32_e32 v11, vcc_lo, 0, v12, vcc_lo
	v_add_co_u32 v9, vcc_lo, v10, v9
	v_add_co_ci_u32_e32 v9, vcc_lo, v11, v13, vcc_lo
	v_add_co_ci_u32_e32 v10, vcc_lo, 0, v14, vcc_lo
	v_add_co_u32 v8, vcc_lo, v9, v8
	v_add_co_ci_u32_e32 v9, vcc_lo, 0, v10, vcc_lo
	v_add_co_u32 v4, vcc_lo, v4, v8
	v_add_co_ci_u32_e32 v7, vcc_lo, v7, v9, vcc_lo
	v_mul_hi_u32 v8, s0, v4
	v_mul_lo_u32 v10, s20, v4
	v_mul_lo_u32 v9, s0, v7
	v_add_nc_u32_e32 v8, v8, v9
	v_mul_lo_u32 v9, s0, v4
	v_add_nc_u32_e32 v8, v8, v10
	v_mul_hi_u32 v10, v4, v9
	v_mul_lo_u32 v11, v4, v8
	v_mul_hi_u32 v12, v4, v8
	v_mul_hi_u32 v13, v7, v9
	v_mul_lo_u32 v9, v7, v9
	v_mul_hi_u32 v14, v7, v8
	v_mul_lo_u32 v8, v7, v8
	v_add_co_u32 v10, vcc_lo, v10, v11
	v_add_co_ci_u32_e32 v11, vcc_lo, 0, v12, vcc_lo
	v_add_co_u32 v9, vcc_lo, v10, v9
	v_add_co_ci_u32_e32 v9, vcc_lo, v11, v13, vcc_lo
	v_add_co_ci_u32_e32 v10, vcc_lo, 0, v14, vcc_lo
	v_add_co_u32 v8, vcc_lo, v9, v8
	v_add_co_ci_u32_e32 v9, vcc_lo, 0, v10, vcc_lo
	v_add_co_u32 v4, vcc_lo, v4, v8
	v_add_co_ci_u32_e32 v11, vcc_lo, v7, v9, vcc_lo
	v_mul_hi_u32 v13, v5, v4
	v_mad_u64_u32 v[9:10], null, v6, v4, 0
	v_mad_u64_u32 v[7:8], null, v5, v11, 0
	;; [unrolled: 1-line block ×3, first 2 shown]
	v_add_co_u32 v4, vcc_lo, v13, v7
	v_add_co_ci_u32_e32 v7, vcc_lo, 0, v8, vcc_lo
	v_add_co_u32 v4, vcc_lo, v4, v9
	v_add_co_ci_u32_e32 v4, vcc_lo, v7, v10, vcc_lo
	v_add_co_ci_u32_e32 v7, vcc_lo, 0, v12, vcc_lo
	v_add_co_u32 v4, vcc_lo, v4, v11
	v_add_co_ci_u32_e32 v9, vcc_lo, 0, v7, vcc_lo
	v_mul_lo_u32 v10, s19, v4
	v_mad_u64_u32 v[7:8], null, s18, v4, 0
	v_mul_lo_u32 v11, s18, v9
	v_sub_co_u32 v7, vcc_lo, v5, v7
	v_add3_u32 v8, v8, v11, v10
	v_sub_nc_u32_e32 v10, v6, v8
	v_subrev_co_ci_u32_e64 v10, s0, s19, v10, vcc_lo
	v_add_co_u32 v11, s0, v4, 2
	v_add_co_ci_u32_e64 v12, s0, 0, v9, s0
	v_sub_co_u32 v13, s0, v7, s18
	v_sub_co_ci_u32_e32 v8, vcc_lo, v6, v8, vcc_lo
	v_subrev_co_ci_u32_e64 v10, s0, 0, v10, s0
	v_cmp_le_u32_e32 vcc_lo, s18, v13
	v_cmp_eq_u32_e64 s0, s19, v8
	v_cndmask_b32_e64 v13, 0, -1, vcc_lo
	v_cmp_le_u32_e32 vcc_lo, s19, v10
	v_cndmask_b32_e64 v14, 0, -1, vcc_lo
	v_cmp_le_u32_e32 vcc_lo, s18, v7
	;; [unrolled: 2-line block ×3, first 2 shown]
	v_cndmask_b32_e64 v15, 0, -1, vcc_lo
	v_cmp_eq_u32_e32 vcc_lo, s19, v10
	v_cndmask_b32_e64 v7, v15, v7, s0
	v_cndmask_b32_e32 v10, v14, v13, vcc_lo
	v_add_co_u32 v13, vcc_lo, v4, 1
	v_add_co_ci_u32_e32 v14, vcc_lo, 0, v9, vcc_lo
	v_cmp_ne_u32_e32 vcc_lo, 0, v10
	v_cndmask_b32_e32 v8, v14, v12, vcc_lo
	v_cndmask_b32_e32 v10, v13, v11, vcc_lo
	v_cmp_ne_u32_e32 vcc_lo, 0, v7
	v_cndmask_b32_e32 v8, v9, v8, vcc_lo
	v_cndmask_b32_e32 v7, v4, v10, vcc_lo
.LBB0_4:                                ;   in Loop: Header=BB0_2 Depth=1
	s_andn2_saveexec_b32 s0, s1
	s_cbranch_execz .LBB0_6
; %bb.5:                                ;   in Loop: Header=BB0_2 Depth=1
	v_cvt_f32_u32_e32 v4, s18
	s_sub_i32 s1, 0, s18
	v_rcp_iflag_f32_e32 v4, v4
	v_mul_f32_e32 v4, 0x4f7ffffe, v4
	v_cvt_u32_f32_e32 v4, v4
	v_mul_lo_u32 v7, s1, v4
	v_mul_hi_u32 v7, v4, v7
	v_add_nc_u32_e32 v4, v4, v7
	v_mul_hi_u32 v4, v5, v4
	v_mul_lo_u32 v7, v4, s18
	v_add_nc_u32_e32 v8, 1, v4
	v_sub_nc_u32_e32 v7, v5, v7
	v_subrev_nc_u32_e32 v9, s18, v7
	v_cmp_le_u32_e32 vcc_lo, s18, v7
	v_cndmask_b32_e32 v7, v7, v9, vcc_lo
	v_cndmask_b32_e32 v4, v4, v8, vcc_lo
	v_cmp_le_u32_e32 vcc_lo, s18, v7
	v_add_nc_u32_e32 v8, 1, v4
	v_cndmask_b32_e32 v7, v4, v8, vcc_lo
	v_mov_b32_e32 v8, v3
.LBB0_6:                                ;   in Loop: Header=BB0_2 Depth=1
	s_or_b32 exec_lo, exec_lo, s0
	s_load_dwordx2 s[0:1], s[6:7], 0x0
	v_mul_lo_u32 v4, v8, s18
	v_mul_lo_u32 v11, v7, s19
	v_mad_u64_u32 v[9:10], null, v7, s18, 0
	s_add_u32 s16, s16, 1
	s_addc_u32 s17, s17, 0
	s_add_u32 s6, s6, 8
	s_addc_u32 s7, s7, 0
	;; [unrolled: 2-line block ×3, first 2 shown]
	v_add3_u32 v4, v10, v11, v4
	v_sub_co_u32 v5, vcc_lo, v5, v9
	v_sub_co_ci_u32_e32 v4, vcc_lo, v6, v4, vcc_lo
	s_waitcnt lgkmcnt(0)
	v_mul_lo_u32 v6, s1, v5
	v_mul_lo_u32 v4, s0, v4
	v_mad_u64_u32 v[1:2], null, s0, v5, v[1:2]
	v_cmp_ge_u64_e64 s0, s[16:17], s[10:11]
	s_and_b32 vcc_lo, exec_lo, s0
	v_add3_u32 v2, v6, v2, v4
	s_cbranch_vccnz .LBB0_9
; %bb.7:                                ;   in Loop: Header=BB0_2 Depth=1
	v_mov_b32_e32 v5, v7
	v_mov_b32_e32 v6, v8
	s_branch .LBB0_2
.LBB0_8:
	v_mov_b32_e32 v8, v6
	v_mov_b32_e32 v7, v5
.LBB0_9:
	s_lshl_b64 s[0:1], s[10:11], 3
	v_mul_hi_u32 v5, 0x253c826, v0
	s_add_u32 s0, s12, s0
	s_addc_u32 s1, s13, s1
	s_load_dwordx2 s[0:1], s[0:1], 0x0
	s_load_dwordx2 s[4:5], s[4:5], 0x20
	s_waitcnt lgkmcnt(0)
	v_mul_lo_u32 v3, s0, v8
	v_mul_lo_u32 v4, s1, v7
	v_mad_u64_u32 v[1:2], null, s0, v7, v[1:2]
	v_cmp_gt_u64_e32 vcc_lo, s[4:5], v[7:8]
	v_add3_u32 v2, v4, v2, v3
	v_mul_u32_u24_e32 v3, 0x6e, v5
	v_lshlrev_b64 v[12:13], 2, v[1:2]
	v_sub_nc_u32_e32 v8, v0, v3
	s_and_saveexec_b32 s1, vcc_lo
	s_cbranch_execz .LBB0_13
; %bb.10:
	v_mov_b32_e32 v9, 0
	v_add_co_u32 v0, s0, s2, v12
	v_add_co_ci_u32_e64 v1, s0, s3, v13, s0
	v_lshlrev_b64 v[2:3], 2, v[8:9]
	s_mov_b32 s4, exec_lo
	v_add_co_u32 v2, s0, v0, v2
	v_add_co_ci_u32_e64 v3, s0, v1, v3, s0
	v_add_co_u32 v4, s0, 0x800, v2
	v_add_co_ci_u32_e64 v5, s0, 0, v3, s0
	s_clause 0x9
	global_load_dword v6, v[2:3], off
	global_load_dword v7, v[2:3], off offset:440
	global_load_dword v10, v[2:3], off offset:880
	;; [unrolled: 1-line block ×9, first 2 shown]
	v_lshl_add_u32 v5, v8, 2, 0
	v_add_nc_u32_e32 v17, 0x200, v5
	v_add_nc_u32_e32 v18, 0x600, v5
	;; [unrolled: 1-line block ×4, first 2 shown]
	s_waitcnt vmcnt(8)
	ds_write2_b32 v5, v6, v7 offset1:110
	s_waitcnt vmcnt(6)
	ds_write2_b32 v17, v10, v11 offset0:92 offset1:202
	s_waitcnt vmcnt(4)
	ds_write2_b32 v18, v2, v3 offset0:56 offset1:166
	s_waitcnt vmcnt(2)
	ds_write2_b32 v19, v14, v15 offset0:20 offset1:130
	s_waitcnt vmcnt(0)
	ds_write2_b32 v20, v16, v4 offset0:112 offset1:222
	v_cmpx_eq_u32_e32 0x6d, v8
	s_cbranch_execz .LBB0_12
; %bb.11:
	v_add_co_u32 v0, s0, 0x1000, v0
	v_add_co_ci_u32_e64 v1, s0, 0, v1, s0
	v_mov_b32_e32 v8, 0x6d
	global_load_dword v0, v[0:1], off offset:304
	s_waitcnt vmcnt(0)
	ds_write_b32 v9, v0 offset:4400
.LBB0_12:
	s_or_b32 exec_lo, exec_lo, s4
.LBB0_13:
	s_or_b32 exec_lo, exec_lo, s1
	v_lshlrev_b32_e32 v10, 2, v8
	s_waitcnt lgkmcnt(0)
	s_barrier
	buffer_gl0_inv
	s_add_u32 s1, s8, 0x1128
	v_add_nc_u32_e32 v26, 0, v10
	v_sub_nc_u32_e32 v2, 0, v10
	s_addc_u32 s4, s9, 0
	s_mov_b32 s5, exec_lo
	ds_read_u16 v0, v26
	ds_read_u16 v1, v2 offset:4400
	s_waitcnt lgkmcnt(0)
	v_add_f16_e32 v4, v1, v0
	v_sub_f16_e32 v3, v0, v1
                                        ; implicit-def: $vgpr0_vgpr1
	v_cmpx_ne_u32_e32 0, v8
	s_xor_b32 s5, exec_lo, s5
	s_cbranch_execz .LBB0_15
; %bb.14:
	v_mov_b32_e32 v9, 0
	v_lshlrev_b64 v[0:1], 2, v[8:9]
	v_add_co_u32 v0, s0, s1, v0
	v_add_co_ci_u32_e64 v1, s0, s4, v1, s0
	global_load_dword v0, v[0:1], off
	ds_read_u16 v1, v2 offset:4402
	ds_read_u16 v5, v26 offset:2
	s_waitcnt lgkmcnt(0)
	v_add_f16_e32 v6, v1, v5
	v_sub_f16_e32 v1, v5, v1
	s_waitcnt vmcnt(0)
	v_lshrrev_b32_e32 v7, 16, v0
	v_fma_f16 v5, v3, v7, v4
	v_fma_f16 v11, v6, v7, v1
	v_fma_f16 v4, -v3, v7, v4
	v_fma_f16 v1, v6, v7, -v1
	v_fma_f16 v5, -v0, v6, v5
	v_fmac_f16_e32 v11, v3, v0
	v_fmac_f16_e32 v4, v0, v6
	;; [unrolled: 1-line block ×3, first 2 shown]
	v_pack_b32_f16 v3, v5, v11
	v_pack_b32_f16 v4, v4, v1
	v_mov_b32_e32 v0, v8
	v_mov_b32_e32 v1, v9
	ds_write_b32 v26, v3
	ds_write_b32 v2, v4 offset:4400
                                        ; implicit-def: $vgpr4
                                        ; implicit-def: $vgpr3
.LBB0_15:
	s_andn2_saveexec_b32 s0, s5
	s_cbranch_execz .LBB0_17
; %bb.16:
	v_pack_b32_f16 v0, v4, v3
	v_mov_b32_e32 v3, 0
	ds_write_b32 v26, v0
	ds_read_b32 v0, v3 offset:2200
	s_waitcnt lgkmcnt(0)
	v_pk_mul_f16 v4, 0xc0004000, v0
	v_mov_b32_e32 v0, 0
	v_mov_b32_e32 v1, 0
	ds_write_b32 v3, v4 offset:2200
.LBB0_17:
	s_or_b32 exec_lo, exec_lo, s0
	v_lshlrev_b64 v[0:1], 2, v[0:1]
	v_add_nc_u32_e32 v18, 0xa00, v26
	v_and_b32_e32 v23, 1, v8
	v_add_nc_u32_e32 v19, 0xdc, v8
	v_add_nc_u32_e32 v20, 0x14a, v8
	;; [unrolled: 1-line block ×3, first 2 shown]
	v_add_co_u32 v0, s0, s1, v0
	v_add_co_ci_u32_e64 v1, s0, s4, v1, s0
	v_add_nc_u32_e32 v22, v26, v10
	v_lshlrev_b32_e32 v29, 2, v23
	v_lshl_add_u32 v25, v19, 3, 0
	s_clause 0x3
	global_load_dword v3, v[0:1], off offset:440
	global_load_dword v4, v[0:1], off offset:880
	;; [unrolled: 1-line block ×4, first 2 shown]
	ds_read_b32 v1, v26 offset:440
	ds_read_b32 v6, v2 offset:3960
	v_lshl_add_u32 v27, v20, 3, 0
	v_lshl_add_u32 v28, v21, 3, 0
	v_cmp_gt_u32_e64 s0, 0x64, v8
                                        ; implicit-def: $vgpr37
	s_waitcnt lgkmcnt(0)
	v_add_f16_e32 v7, v1, v6
	v_add_f16_sdwa v9, v6, v1 dst_sel:DWORD dst_unused:UNUSED_PAD src0_sel:WORD_1 src1_sel:WORD_1
	v_sub_f16_e32 v11, v1, v6
	v_sub_f16_sdwa v1, v1, v6 dst_sel:DWORD dst_unused:UNUSED_PAD src0_sel:WORD_1 src1_sel:WORD_1
	s_waitcnt vmcnt(3)
	v_lshrrev_b32_e32 v14, 16, v3
	v_fma_f16 v6, v11, v14, v7
	v_fma_f16 v15, v9, v14, v1
	v_fma_f16 v7, -v11, v14, v7
	v_fma_f16 v1, v9, v14, -v1
	v_fma_f16 v6, -v3, v9, v6
	v_fmac_f16_e32 v15, v11, v3
	v_fmac_f16_e32 v7, v3, v9
	;; [unrolled: 1-line block ×3, first 2 shown]
	v_pack_b32_f16 v3, v6, v15
	s_waitcnt vmcnt(2)
	v_lshrrev_b32_e32 v6, 16, v4
	v_pack_b32_f16 v1, v7, v1
	ds_write_b32 v26, v3 offset:440
	ds_write_b32 v2, v1 offset:3960
	ds_read_b32 v1, v26 offset:880
	ds_read_b32 v3, v2 offset:3520
	s_waitcnt lgkmcnt(0)
	v_add_f16_e32 v7, v1, v3
	v_add_f16_sdwa v9, v3, v1 dst_sel:DWORD dst_unused:UNUSED_PAD src0_sel:WORD_1 src1_sel:WORD_1
	v_sub_f16_e32 v11, v1, v3
	v_sub_f16_sdwa v1, v1, v3 dst_sel:DWORD dst_unused:UNUSED_PAD src0_sel:WORD_1 src1_sel:WORD_1
	v_fma_f16 v3, v11, v6, v7
	v_fma_f16 v14, v9, v6, v1
	v_fma_f16 v7, -v11, v6, v7
	v_fma_f16 v1, v9, v6, -v1
	v_fma_f16 v3, -v4, v9, v3
	v_fmac_f16_e32 v14, v11, v4
	v_fmac_f16_e32 v7, v4, v9
	;; [unrolled: 1-line block ×3, first 2 shown]
	s_waitcnt vmcnt(1)
	v_lshrrev_b32_e32 v4, 16, v5
	v_pack_b32_f16 v3, v3, v14
	v_pack_b32_f16 v1, v7, v1
	ds_write_b32 v26, v3 offset:880
	ds_write_b32 v2, v1 offset:3520
	ds_read_b32 v1, v26 offset:1320
	ds_read_b32 v3, v2 offset:3080
	s_waitcnt lgkmcnt(0)
	v_add_f16_e32 v6, v1, v3
	v_add_f16_sdwa v7, v3, v1 dst_sel:DWORD dst_unused:UNUSED_PAD src0_sel:WORD_1 src1_sel:WORD_1
	v_sub_f16_e32 v9, v1, v3
	v_sub_f16_sdwa v1, v1, v3 dst_sel:DWORD dst_unused:UNUSED_PAD src0_sel:WORD_1 src1_sel:WORD_1
	v_fma_f16 v3, v9, v4, v6
	v_fma_f16 v11, v7, v4, v1
	v_fma_f16 v6, -v9, v4, v6
	v_fma_f16 v1, v7, v4, -v1
	s_waitcnt vmcnt(0)
	v_lshrrev_b32_e32 v4, 16, v0
	v_fma_f16 v3, -v5, v7, v3
	v_fmac_f16_e32 v11, v9, v5
	v_fmac_f16_e32 v6, v5, v7
	;; [unrolled: 1-line block ×3, first 2 shown]
	v_pack_b32_f16 v3, v3, v11
	v_add_nc_u32_e32 v11, 0x600, v26
	v_pack_b32_f16 v1, v6, v1
	ds_write_b32 v26, v3 offset:1320
	ds_write_b32 v2, v1 offset:3080
	ds_read_b32 v1, v26 offset:1760
	ds_read_b32 v3, v2 offset:2640
	s_waitcnt lgkmcnt(0)
	v_add_f16_e32 v5, v1, v3
	v_add_f16_sdwa v6, v3, v1 dst_sel:DWORD dst_unused:UNUSED_PAD src0_sel:WORD_1 src1_sel:WORD_1
	v_sub_f16_e32 v7, v1, v3
	v_sub_f16_sdwa v1, v1, v3 dst_sel:DWORD dst_unused:UNUSED_PAD src0_sel:WORD_1 src1_sel:WORD_1
	v_fma_f16 v3, v7, v4, v5
	v_fma_f16 v9, v6, v4, v1
	v_fma_f16 v5, -v7, v4, v5
	v_fma_f16 v1, v6, v4, -v1
	v_fma_f16 v3, -v0, v6, v3
	v_fmac_f16_e32 v9, v7, v0
	v_fmac_f16_e32 v5, v0, v6
	;; [unrolled: 1-line block ×3, first 2 shown]
	v_add_nc_u32_e32 v0, 0x200, v26
	v_pack_b32_f16 v3, v3, v9
	v_add_nc_u32_e32 v9, 0x6e, v8
	v_pack_b32_f16 v4, v5, v1
	v_add_nc_u32_e32 v1, 0xc00, v26
	ds_write_b32 v26, v3 offset:1760
	ds_write_b32 v2, v4 offset:2640
	s_waitcnt lgkmcnt(0)
	s_barrier
	buffer_gl0_inv
	s_barrier
	buffer_gl0_inv
	ds_read2_b32 v[2:3], v26 offset1:110
	ds_read2_b32 v[4:5], v11 offset0:56 offset1:166
	ds_read2_b32 v[6:7], v18 offset0:20 offset1:130
	;; [unrolled: 1-line block ×4, first 2 shown]
	v_lshl_add_u32 v24, v9, 3, 0
	s_waitcnt lgkmcnt(0)
	s_barrier
	buffer_gl0_inv
	v_pk_add_f16 v5, v2, v5 neg_lo:[0,1] neg_hi:[0,1]
	v_pk_add_f16 v6, v3, v6 neg_lo:[0,1] neg_hi:[0,1]
	;; [unrolled: 1-line block ×5, first 2 shown]
	v_pk_fma_f16 v2, v2, 2.0, v5 op_sel_hi:[1,0,1] neg_lo:[0,0,1] neg_hi:[0,0,1]
	v_pk_fma_f16 v3, v3, 2.0, v6 op_sel_hi:[1,0,1] neg_lo:[0,0,1] neg_hi:[0,0,1]
	v_pk_fma_f16 v14, v14, 2.0, v7 op_sel_hi:[1,0,1] neg_lo:[0,0,1] neg_hi:[0,0,1]
	v_pk_fma_f16 v15, v15, 2.0, v16 op_sel_hi:[1,0,1] neg_lo:[0,0,1] neg_hi:[0,0,1]
	v_pk_fma_f16 v4, v4, 2.0, v17 op_sel_hi:[1,0,1] neg_lo:[0,0,1] neg_hi:[0,0,1]
	ds_write2_b32 v22, v2, v5 offset1:1
	ds_write2_b32 v24, v3, v6 offset1:1
	;; [unrolled: 1-line block ×5, first 2 shown]
	s_waitcnt lgkmcnt(0)
	s_barrier
	buffer_gl0_inv
	global_load_dword v14, v29, s[8:9]
	ds_read2_b32 v[2:3], v1 offset0:112 offset1:222
	ds_read2_b32 v[4:5], v18 offset0:20 offset1:130
	;; [unrolled: 1-line block ×3, first 2 shown]
	v_lshlrev_b32_e32 v15, 1, v8
	v_lshlrev_b32_e32 v16, 1, v9
	;; [unrolled: 1-line block ×5, first 2 shown]
	v_and_or_b32 v11, 0xfc, v15, v23
	v_and_or_b32 v15, 0x1fc, v16, v23
	;; [unrolled: 1-line block ×5, first 2 shown]
	ds_read2_b32 v[24:25], v26 offset1:110
	ds_read2_b32 v[27:28], v0 offset0:92 offset1:202
	v_lshl_add_u32 v32, v15, 2, 0
	v_lshl_add_u32 v33, v16, 2, 0
	;; [unrolled: 1-line block ×5, first 2 shown]
	s_waitcnt vmcnt(0) lgkmcnt(0)
	s_barrier
	buffer_gl0_inv
	v_pk_mul_f16 v15, v14, v3 op_sel:[0,1]
	v_pk_mul_f16 v16, v14, v2 op_sel:[0,1]
	;; [unrolled: 1-line block ×5, first 2 shown]
	v_pk_fma_f16 v20, v14, v3, v15 op_sel:[0,0,1] op_sel_hi:[1,1,0]
	v_pk_fma_f16 v3, v14, v3, v15 op_sel:[0,0,1] op_sel_hi:[1,0,0] neg_lo:[1,0,0] neg_hi:[1,0,0]
	v_pk_fma_f16 v15, v14, v2, v16 op_sel:[0,0,1] op_sel_hi:[1,1,0]
	v_pk_fma_f16 v2, v14, v2, v16 op_sel:[0,0,1] op_sel_hi:[1,0,0] neg_lo:[1,0,0] neg_hi:[1,0,0]
	;; [unrolled: 2-line block ×5, first 2 shown]
	v_bfi_b32 v3, 0xffff, v20, v3
	v_bfi_b32 v2, 0xffff, v15, v2
	v_bfi_b32 v5, 0xffff, v16, v5
	v_bfi_b32 v4, 0xffff, v17, v4
	v_bfi_b32 v7, 0xffff, v18, v7
	v_pk_add_f16 v17, v6, v3 neg_lo:[0,1] neg_hi:[0,1]
	v_pk_add_f16 v19, v28, v2 neg_lo:[0,1] neg_hi:[0,1]
	;; [unrolled: 1-line block ×5, first 2 shown]
	v_pk_fma_f16 v16, v6, 2.0, v17 op_sel_hi:[1,0,1] neg_lo:[0,0,1] neg_hi:[0,0,1]
	v_pk_fma_f16 v18, v28, 2.0, v19 op_sel_hi:[1,0,1] neg_lo:[0,0,1] neg_hi:[0,0,1]
	;; [unrolled: 1-line block ×5, first 2 shown]
	v_lshrrev_b32_e32 v27, 16, v17
	v_lshrrev_b32_e32 v31, 16, v19
	;; [unrolled: 1-line block ×4, first 2 shown]
	ds_write2_b32 v11, v14, v15 offset1:2
	ds_write2_b32 v32, v22, v23 offset1:2
	;; [unrolled: 1-line block ×4, first 2 shown]
	v_lshrrev_b32_e32 v28, 16, v16
	v_lshrrev_b32_e32 v33, 16, v18
	;; [unrolled: 1-line block ×6, first 2 shown]
	ds_write2_b32 v36, v16, v17 offset1:2
	s_waitcnt lgkmcnt(0)
	s_barrier
	buffer_gl0_inv
                                        ; implicit-def: $vgpr36
	s_and_saveexec_b32 s1, s0
	s_cbranch_execz .LBB0_19
; %bb.18:
	ds_read2_b32 v[14:15], v26 offset1:100
	ds_read2_b32 v[16:17], v1 offset0:32 offset1:132
	v_add_nc_u32_e32 v1, 0x400, v26
	v_add_nc_u32_e32 v2, 0x800, v26
	ds_read_b32 v36, v26 offset:4000
	ds_read2_b32 v[22:23], v0 offset0:72 offset1:172
	ds_read2_b32 v[20:21], v1 offset0:144 offset1:244
	;; [unrolled: 1-line block ×3, first 2 shown]
	s_waitcnt lgkmcnt(5)
	v_lshrrev_b32_e32 v11, 16, v14
	s_waitcnt lgkmcnt(4)
	v_lshrrev_b32_e32 v28, 16, v16
	v_lshrrev_b32_e32 v27, 16, v17
	;; [unrolled: 1-line block ×3, first 2 shown]
	s_waitcnt lgkmcnt(3)
	v_lshrrev_b32_e32 v37, 16, v36
	s_waitcnt lgkmcnt(2)
	v_lshrrev_b32_e32 v34, 16, v22
	v_lshrrev_b32_e32 v30, 16, v23
	s_waitcnt lgkmcnt(1)
	v_lshrrev_b32_e32 v32, 16, v20
	;; [unrolled: 3-line block ×3, first 2 shown]
	v_lshrrev_b32_e32 v31, 16, v19
.LBB0_19:
	s_or_b32 exec_lo, exec_lo, s1
	s_barrier
	buffer_gl0_inv
	s_and_saveexec_b32 s1, s0
	s_cbranch_execz .LBB0_21
; %bb.20:
	v_and_b32_e32 v38, 3, v8
	v_lshrrev_b32_e32 v39, 2, v8
	v_mul_u32_u24_e32 v0, 10, v38
	v_mul_u32_u24_e32 v39, 44, v39
	v_lshlrev_b32_e32 v0, 2, v0
	v_or_b32_e32 v38, v39, v38
	s_clause 0x2
	global_load_dwordx4 v[4:7], v0, s[8:9] offset:8
	global_load_dwordx2 v[24:25], v0, s[8:9] offset:40
	global_load_dwordx4 v[0:3], v0, s[8:9] offset:24
	v_lshl_add_u32 v38, v38, 2, 0
	s_waitcnt vmcnt(2)
	v_mul_f16_sdwa v39, v35, v4 dst_sel:DWORD dst_unused:UNUSED_PAD src0_sel:DWORD src1_sel:WORD_1
	s_waitcnt vmcnt(1)
	v_mul_f16_sdwa v41, v36, v25 dst_sel:DWORD dst_unused:UNUSED_PAD src0_sel:DWORD src1_sel:WORD_1
	v_mul_f16_sdwa v42, v15, v4 dst_sel:DWORD dst_unused:UNUSED_PAD src0_sel:DWORD src1_sel:WORD_1
	;; [unrolled: 1-line block ×8, first 2 shown]
	s_waitcnt vmcnt(0)
	v_mul_f16_sdwa v56, v33, v1 dst_sel:DWORD dst_unused:UNUSED_PAD src0_sel:DWORD src1_sel:WORD_1
	v_fmac_f16_e32 v39, v15, v4
	v_fma_f16 v15, v37, v25, -v41
	v_fma_f16 v4, v35, v4, -v42
	v_mul_f16_sdwa v50, v23, v6 dst_sel:DWORD dst_unused:UNUSED_PAD src0_sel:DWORD src1_sel:WORD_1
	v_mul_f16_sdwa v51, v32, v7 dst_sel:DWORD dst_unused:UNUSED_PAD src0_sel:DWORD src1_sel:WORD_1
	;; [unrolled: 1-line block ×5, first 2 shown]
	v_fmac_f16_e32 v40, v36, v25
	v_fmac_f16_e32 v43, v22, v5
	;; [unrolled: 1-line block ×3, first 2 shown]
	v_fma_f16 v17, v27, v24, -v45
	v_fma_f16 v5, v34, v5, -v46
	v_fmac_f16_e32 v47, v23, v6
	v_fmac_f16_e32 v56, v18, v1
	v_add_f16_e32 v18, v4, v15
	v_sub_f16_e32 v23, v4, v15
	v_add_f16_e32 v25, v14, v39
	v_add_f16_e32 v4, v11, v4
	v_mul_f16_sdwa v48, v28, v3 dst_sel:DWORD dst_unused:UNUSED_PAD src0_sel:DWORD src1_sel:WORD_1
	v_mul_f16_sdwa v49, v16, v3 dst_sel:DWORD dst_unused:UNUSED_PAD src0_sel:DWORD src1_sel:WORD_1
	;; [unrolled: 1-line block ×5, first 2 shown]
	v_fma_f16 v6, v30, v6, -v50
	v_fmac_f16_e32 v51, v20, v7
	v_fmac_f16_e32 v52, v19, v2
	v_fma_f16 v2, v31, v2, -v53
	v_add_f16_e32 v20, v5, v17
	v_sub_f16_e32 v31, v5, v17
	v_add_f16_e32 v4, v4, v5
	v_add_f16_e32 v5, v25, v43
	v_fmac_f16_e32 v48, v16, v3
	v_fma_f16 v3, v28, v3, -v49
	v_fma_f16 v7, v32, v7, -v54
	v_fmac_f16_e32 v55, v21, v0
	v_fma_f16 v1, v33, v1, -v57
	v_fma_f16 v0, v29, v0, -v58
	v_sub_f16_e32 v16, v39, v40
	v_sub_f16_e32 v19, v43, v44
	v_add_f16_e32 v4, v4, v6
	v_add_f16_e32 v5, v5, v47
	v_sub_f16_e32 v21, v47, v48
	v_add_f16_e32 v22, v6, v3
	v_add_f16_e32 v24, v39, v40
	v_sub_f16_e32 v27, v51, v52
	v_add_f16_e32 v28, v7, v2
	v_sub_f16_e32 v29, v55, v56
	;; [unrolled: 2-line block ×3, first 2 shown]
	v_sub_f16_e32 v35, v7, v2
	v_sub_f16_e32 v37, v0, v1
	v_mul_f16_e32 v41, 0xbb47, v16
	v_mul_f16_e32 v42, 0xba0c, v19
	;; [unrolled: 1-line block ×14, first 2 shown]
	v_add_f16_e32 v5, v5, v51
	v_add_f16_e32 v4, v4, v7
	;; [unrolled: 1-line block ×6, first 2 shown]
	v_mul_f16_e32 v57, 0xb853, v21
	v_mul_f16_e32 v61, 0xba0c, v21
	v_mul_f16_e32 v64, 0x36a6, v20
	v_mul_f16_e32 v65, 0x3b47, v21
	v_mul_f16_e32 v66, 0x3482, v21
	v_mul_f16_e32 v67, 0xb08e, v22
	v_mul_f16_e32 v68, 0x3b47, v27
	v_mul_f16_e32 v69, 0xb482, v27
	v_mul_f16_e32 v70, 0xb853, v27
	v_mul_f16_e32 v71, 0x3beb, v27
	v_mul_f16_e32 v72, 0xb93d, v28
	v_mul_f16_e32 v73, 0xbbeb, v29
	v_mul_f16_e32 v74, 0x3b47, v29
	v_mul_f16_e32 v75, 0xba0c, v29
	v_mul_f16_e32 v76, 0x3853, v29
	v_mul_f16_e32 v77, 0xbbad, v30
	v_mul_f16_e32 v25, 0x3853, v31
	v_mul_f16_e32 v43, 0xba0c, v31
	v_mul_f16_e32 v78, 0x3beb, v31
	v_mul_f16_e32 v79, 0x3482, v31
	v_mul_f16_e32 v31, 0xbb47, v31
	v_mul_f16_e32 v80, 0xba0c, v33
	v_mul_f16_e32 v81, 0x3482, v33
	v_mul_f16_e32 v82, 0xb853, v33
	v_mul_f16_e32 v83, 0x3b47, v33
	v_mul_f16_e32 v33, 0xbbeb, v33
	v_mul_f16_e32 v84, 0x3beb, v35
	v_mul_f16_e32 v85, 0xb853, v35
	v_mul_f16_e32 v86, 0xb482, v35
	v_mul_f16_e32 v87, 0x3b47, v35
	v_mul_f16_e32 v35, 0xba0c, v35
	v_mul_f16_e32 v88, 0x3853, v37
	v_mul_f16_e32 v89, 0xba0c, v37
	v_mul_f16_e32 v90, 0x3b47, v37
	v_mul_f16_e32 v91, 0xbbeb, v37
	v_mul_f16_e32 v37, 0xb482, v37
	v_fmamk_f16 v92, v18, 0x36a6, v41
	v_fmamk_f16 v93, v20, 0xb93d, v42
	v_fma_f16 v94, v24, 0x36a6, -v45
	v_fmamk_f16 v95, v18, 0xb08e, v46
	v_fmamk_f16 v96, v20, 0xbbad, v49
	v_fma_f16 v97, v24, 0xb08e, -v50
	v_fmamk_f16 v98, v18, 0xb93d, v53
	v_fma_f16 v99, v24, 0xb93d, -v58
	v_fma_f16 v100, v24, 0xbbad, -v62
	v_fmac_f16_e32 v62, 0xbbad, v24
	v_fmac_f16_e32 v58, 0xb93d, v24
	;; [unrolled: 1-line block ×4, first 2 shown]
	v_fmamk_f16 v101, v24, 0x3abb, v23
	v_fma_f16 v23, v24, 0x3abb, -v23
	v_fmamk_f16 v24, v20, 0xb08e, v54
	v_fmamk_f16 v103, v18, 0xbbad, v59
	v_fma_f16 v59, v18, 0xbbad, -v59
	v_fma_f16 v53, v18, 0xb93d, -v53
	;; [unrolled: 1-line block ×4, first 2 shown]
	v_fmamk_f16 v41, v20, 0x3abb, v60
	v_fma_f16 v60, v20, 0x3abb, -v60
	v_fma_f16 v54, v20, 0xb08e, -v54
	v_fma_f16 v49, v20, 0xbbad, -v49
	v_fma_f16 v20, v20, 0xb93d, -v42
	v_fmamk_f16 v42, v16, 0x3853, v63
	v_add_f16_e32 v5, v5, v55
	v_add_f16_e32 v0, v4, v0
	v_fmamk_f16 v102, v22, 0x3abb, v57
	v_fmac_f16_e32 v63, 0xb853, v16
	v_fmamk_f16 v16, v19, 0x3b47, v64
	v_fmac_f16_e32 v64, 0xbb47, v19
	v_fmamk_f16 v19, v22, 0xb93d, v61
	v_fma_f16 v61, v22, 0xb93d, -v61
	v_fma_f16 v57, v22, 0x3abb, -v57
	v_fmamk_f16 v104, v22, 0x36a6, v65
	v_fma_f16 v65, v22, 0x36a6, -v65
	v_fmamk_f16 v105, v22, 0xbbad, v66
	;; [unrolled: 2-line block ×3, first 2 shown]
	v_fmac_f16_e32 v67, 0xbbeb, v21
	v_fmamk_f16 v21, v28, 0x36a6, v68
	v_fma_f16 v68, v28, 0x36a6, -v68
	v_fmamk_f16 v106, v28, 0xbbad, v69
	v_fma_f16 v69, v28, 0xbbad, -v69
	;; [unrolled: 2-line block ×4, first 2 shown]
	v_fmamk_f16 v71, v27, 0x3a0c, v72
	v_fmac_f16_e32 v72, 0xba0c, v27
	v_fmamk_f16 v27, v30, 0xb08e, v73
	v_fma_f16 v73, v30, 0xb08e, -v73
	v_fmamk_f16 v109, v30, 0x36a6, v74
	v_fma_f16 v74, v30, 0x36a6, -v74
	;; [unrolled: 2-line block ×4, first 2 shown]
	v_fmamk_f16 v76, v29, 0x3482, v77
	v_fmac_f16_e32 v77, 0xb482, v29
	v_fma_f16 v29, v32, 0x3abb, -v25
	v_fmac_f16_e32 v25, 0x3abb, v32
	v_fma_f16 v112, v32, 0xb08e, -v78
	;; [unrolled: 2-line block ×4, first 2 shown]
	v_fmac_f16_e32 v43, 0xb93d, v32
	v_fmamk_f16 v115, v32, 0x36a6, v31
	v_fma_f16 v31, v32, 0x36a6, -v31
	v_fma_f16 v6, v34, 0xb93d, -v80
	v_fmac_f16_e32 v80, 0xb93d, v34
	v_fma_f16 v32, v34, 0x3abb, -v82
	v_fmac_f16_e32 v82, 0x3abb, v34
	v_fma_f16 v47, v34, 0x36a6, -v83
	v_fmac_f16_e32 v83, 0x36a6, v34
	v_fma_f16 v116, v34, 0xbbad, -v81
	v_fmac_f16_e32 v81, 0xbbad, v34
	v_fmamk_f16 v117, v34, 0xb08e, v33
	v_fma_f16 v33, v34, 0xb08e, -v33
	v_fma_f16 v34, v36, 0x36a6, -v87
	v_fmac_f16_e32 v87, 0x36a6, v36
	v_fma_f16 v118, v36, 0xbbad, -v86
	v_fmac_f16_e32 v86, 0xbbad, v36
	v_fma_f16 v119, v36, 0x3abb, -v85
	v_fmac_f16_e32 v85, 0x3abb, v36
	v_fma_f16 v120, v36, 0xb08e, -v84
	;; [unrolled: 10-line block ×3, first 2 shown]
	v_fmac_f16_e32 v88, 0x3abb, v39
	v_fmamk_f16 v125, v39, 0xbbad, v37
	v_fma_f16 v37, v39, 0xbbad, -v37
	v_add_f16_e32 v39, v14, v94
	v_add_f16_e32 v94, v14, v97
	;; [unrolled: 1-line block ×110, first 2 shown]
	v_pack_b32_f16 v3, v3, v16
	v_pack_b32_f16 v16, v20, v18
	;; [unrolled: 1-line block ×11, first 2 shown]
	ds_write2_b32 v38, v16, v17 offset0:8 offset1:12
	ds_write2_b32 v38, v18, v20 offset0:16 offset1:20
	;; [unrolled: 1-line block ×4, first 2 shown]
	ds_write2_b32 v38, v0, v3 offset1:4
	ds_write_b32 v38, v1 offset:160
.LBB0_21:
	s_or_b32 exec_lo, exec_lo, s1
	v_and_b32_e32 v0, 0xff, v8
	v_and_b32_e32 v1, 0xff, v9
	s_waitcnt lgkmcnt(0)
	s_barrier
	buffer_gl0_inv
	v_mul_lo_u16 v0, 0xbb, v0
	v_add_nc_u32_e32 v3, 0x200, v26
	ds_read2_b32 v[18:19], v26 offset1:110
	v_mov_b32_e32 v35, 2
	v_mov_b32_e32 v36, 0x370
	v_lshrrev_b16 v31, 13, v0
	v_mul_lo_u16 v0, 0xbb, v1
	v_mov_b32_e32 v11, 0
	v_mul_lo_u16 v1, v31, 44
	v_lshrrev_b16 v32, 13, v0
	v_mov_b32_e32 v0, 4
	v_mul_u32_u24_sdwa v31, v31, v36 dst_sel:DWORD dst_unused:UNUSED_PAD src0_sel:WORD_0 src1_sel:DWORD
	v_lshlrev_b64 v[29:30], 2, v[10:11]
	v_sub_nc_u16 v33, v8, v1
	v_mul_lo_u16 v1, v32, 44
	v_mul_u32_u24_sdwa v32, v32, v36 dst_sel:DWORD dst_unused:UNUSED_PAD src0_sel:WORD_0 src1_sel:DWORD
	v_lshlrev_b32_e32 v10, 2, v9
	v_add_co_u32 v29, s0, s8, v29
	v_sub_nc_u16 v34, v9, v1
	v_lshlrev_b32_sdwa v2, v0, v33 dst_sel:DWORD dst_unused:UNUSED_PAD src0_sel:DWORD src1_sel:BYTE_0
	v_add_nc_u32_e32 v1, 0xa00, v26
	v_lshlrev_b32_sdwa v33, v35, v33 dst_sel:DWORD dst_unused:UNUSED_PAD src0_sel:DWORD src1_sel:BYTE_0
	s_waitcnt lgkmcnt(0)
	v_lshrrev_b32_e32 v36, 16, v18
	v_lshlrev_b32_sdwa v0, v0, v34 dst_sel:DWORD dst_unused:UNUSED_PAD src0_sel:DWORD src1_sel:BYTE_0
	global_load_dwordx4 v[4:7], v2, s[8:9] offset:168
	v_lshlrev_b32_sdwa v34, v35, v34 dst_sel:DWORD dst_unused:UNUSED_PAD src0_sel:DWORD src1_sel:BYTE_0
	v_add3_u32 v31, 0, v31, v33
	v_lshrrev_b32_e32 v37, 16, v19
	global_load_dwordx4 v[14:17], v0, s[8:9] offset:168
	v_add_nc_u32_e32 v0, 0x600, v26
	v_add_nc_u32_e32 v2, 0xc00, v26
	ds_read2_b32 v[20:21], v0 offset0:56 offset1:166
	ds_read2_b32 v[22:23], v1 offset0:20 offset1:130
	;; [unrolled: 1-line block ×4, first 2 shown]
	v_add3_u32 v32, 0, v32, v34
	v_lshlrev_b64 v[9:10], 2, v[10:11]
	v_add_co_ci_u32_e64 v30, s0, s9, v30, s0
	s_waitcnt vmcnt(0) lgkmcnt(0)
	s_barrier
	buffer_gl0_inv
	v_add_co_u32 v9, s0, s8, v9
	v_add_co_ci_u32_e64 v10, s0, s9, v10, s0
	v_lshrrev_b32_e32 v42, 16, v20
	v_lshrrev_b32_e32 v43, 16, v22
	;; [unrolled: 1-line block ×8, first 2 shown]
	v_mul_f16_sdwa v33, v4, v41 dst_sel:DWORD dst_unused:UNUSED_PAD src0_sel:WORD_1 src1_sel:DWORD
	v_mul_f16_sdwa v34, v4, v27 dst_sel:DWORD dst_unused:UNUSED_PAD src0_sel:WORD_1 src1_sel:DWORD
	;; [unrolled: 1-line block ×10, first 2 shown]
	v_mul_f16_sdwa v53, v38, v15 dst_sel:DWORD dst_unused:UNUSED_PAD src0_sel:DWORD src1_sel:WORD_1
	v_mul_f16_sdwa v54, v21, v15 dst_sel:DWORD dst_unused:UNUSED_PAD src0_sel:DWORD src1_sel:WORD_1
	;; [unrolled: 1-line block ×6, first 2 shown]
	v_fmac_f16_e32 v33, v4, v27
	v_fma_f16 v4, v4, v41, -v34
	v_fmac_f16_e32 v45, v5, v20
	v_fma_f16 v5, v5, v42, -v46
	;; [unrolled: 2-line block ×8, first 2 shown]
	v_add_f16_e32 v21, v45, v47
	v_add_f16_e32 v27, v33, v49
	;; [unrolled: 1-line block ×5, first 2 shown]
	v_sub_f16_e32 v24, v33, v45
	v_sub_f16_e32 v25, v49, v47
	;; [unrolled: 1-line block ×6, first 2 shown]
	v_add_f16_e32 v46, v53, v55
	v_add_f16_e32 v60, v37, v14
	;; [unrolled: 1-line block ×6, first 2 shown]
	v_sub_f16_e32 v22, v4, v7
	v_sub_f16_e32 v23, v5, v6
	;; [unrolled: 1-line block ×5, first 2 shown]
	v_fma_f16 v21, -0.5, v21, v18
	v_fma_f16 v18, -0.5, v27, v18
	v_add_f16_e32 v5, v35, v5
	v_fma_f16 v27, -0.5, v38, v36
	v_sub_f16_e32 v39, v45, v47
	v_add_f16_e32 v44, v19, v51
	v_fmac_f16_e32 v36, -0.5, v42
	v_sub_f16_e32 v48, v14, v17
	v_sub_f16_e32 v50, v15, v16
	;; [unrolled: 1-line block ×7, first 2 shown]
	v_add_f16_e32 v24, v24, v25
	v_add_f16_e32 v25, v28, v34
	v_add_f16_e32 v28, v40, v41
	v_fma_f16 v35, -0.5, v46, v19
	v_add_f16_e32 v15, v60, v15
	v_fma_f16 v41, -0.5, v61, v37
	v_sub_f16_e32 v54, v57, v55
	v_sub_f16_e32 v62, v53, v55
	v_add_f16_e32 v20, v20, v45
	v_fmac_f16_e32 v19, -0.5, v56
	v_fmac_f16_e32 v37, -0.5, v65
	v_add_f16_e32 v4, v4, v43
	v_fmamk_f16 v43, v22, 0xbb9c, v21
	v_add_f16_e32 v5, v5, v6
	v_fmamk_f16 v6, v33, 0x3b9c, v27
	;; [unrolled: 2-line block ×3, first 2 shown]
	v_fmac_f16_e32 v18, 0xbb9c, v23
	v_fmamk_f16 v45, v39, 0xbb9c, v36
	v_fmac_f16_e32 v36, 0x3b9c, v39
	v_fmac_f16_e32 v21, 0x3b9c, v22
	;; [unrolled: 1-line block ×3, first 2 shown]
	v_sub_f16_e32 v64, v17, v16
	v_sub_f16_e32 v66, v16, v17
	v_fmamk_f16 v46, v48, 0xbb9c, v35
	v_add_f16_e32 v15, v15, v16
	v_fmamk_f16 v16, v51, 0x3b9c, v41
	v_sub_f16_e32 v59, v55, v57
	v_add_f16_e32 v38, v52, v54
	v_add_f16_e32 v20, v20, v47
	v_fmamk_f16 v47, v50, 0x3b9c, v19
	v_fmac_f16_e32 v19, 0xbb9c, v50
	v_fmamk_f16 v52, v62, 0xbb9c, v37
	v_fmac_f16_e32 v37, 0x3b9c, v62
	v_fmac_f16_e32 v35, 0x3b9c, v48
	;; [unrolled: 1-line block ×5, first 2 shown]
	v_add_f16_e32 v34, v34, v55
	v_fmac_f16_e32 v44, 0xb8b4, v22
	v_fmac_f16_e32 v18, 0x38b4, v22
	;; [unrolled: 1-line block ×6, first 2 shown]
	v_add_f16_e32 v42, v63, v64
	v_fmac_f16_e32 v46, 0xb8b4, v50
	v_fmac_f16_e32 v16, 0x38b4, v62
	v_add_f16_e32 v40, v58, v59
	v_add_f16_e32 v14, v14, v66
	v_fmac_f16_e32 v47, 0xb8b4, v48
	v_fmac_f16_e32 v19, 0x38b4, v48
	v_fmac_f16_e32 v52, 0x38b4, v51
	v_fmac_f16_e32 v37, 0xb8b4, v51
	v_add_f16_e32 v20, v20, v49
	v_add_f16_e32 v5, v5, v7
	v_fmac_f16_e32 v35, 0x38b4, v50
	v_fmac_f16_e32 v41, 0xb8b4, v62
	v_fmac_f16_e32 v43, 0x34f2, v24
	v_fmac_f16_e32 v6, 0x34f2, v28
	v_add_f16_e32 v7, v34, v57
	v_add_f16_e32 v15, v15, v17
	v_fmac_f16_e32 v44, 0x34f2, v25
	v_fmac_f16_e32 v18, 0x34f2, v25
	v_fmac_f16_e32 v45, 0x34f2, v4
	v_fmac_f16_e32 v36, 0x34f2, v4
	;; [unrolled: 1-line block ×12, first 2 shown]
	v_pack_b32_f16 v4, v20, v5
	v_pack_b32_f16 v6, v43, v6
	;; [unrolled: 1-line block ×10, first 2 shown]
	ds_write2_b32 v31, v4, v6 offset1:44
	ds_write2_b32 v31, v7, v14 offset0:88 offset1:132
	ds_write_b32 v31, v15 offset:704
	ds_write2_b32 v32, v5, v16 offset1:44
	ds_write2_b32 v32, v17, v18 offset0:88 offset1:132
	ds_write_b32 v32, v19 offset:704
	s_waitcnt lgkmcnt(0)
	s_barrier
	buffer_gl0_inv
	s_clause 0x1
	global_load_dwordx4 v[4:7], v[29:30], off offset:872
	global_load_dwordx4 v[14:17], v[9:10], off offset:872
	ds_read2_b32 v[9:10], v26 offset1:110
	ds_read2_b32 v[18:19], v0 offset0:56 offset1:166
	ds_read2_b32 v[20:21], v1 offset0:20 offset1:130
	;; [unrolled: 1-line block ×4, first 2 shown]
	s_waitcnt vmcnt(0) lgkmcnt(0)
	s_barrier
	buffer_gl0_inv
	v_lshrrev_b32_e32 v27, 16, v9
	v_lshrrev_b32_e32 v29, 16, v19
	;; [unrolled: 1-line block ×10, first 2 shown]
	v_mul_f16_sdwa v37, v4, v32 dst_sel:DWORD dst_unused:UNUSED_PAD src0_sel:WORD_1 src1_sel:DWORD
	v_mul_f16_sdwa v38, v4, v24 dst_sel:DWORD dst_unused:UNUSED_PAD src0_sel:WORD_1 src1_sel:DWORD
	;; [unrolled: 1-line block ×10, first 2 shown]
	v_mul_f16_sdwa v47, v29, v15 dst_sel:DWORD dst_unused:UNUSED_PAD src0_sel:DWORD src1_sel:WORD_1
	v_mul_f16_sdwa v48, v19, v15 dst_sel:DWORD dst_unused:UNUSED_PAD src0_sel:DWORD src1_sel:WORD_1
	;; [unrolled: 1-line block ×6, first 2 shown]
	v_fmac_f16_e32 v37, v4, v24
	v_fma_f16 v4, v4, v32, -v38
	v_fmac_f16_e32 v39, v5, v18
	v_fma_f16 v5, v5, v33, -v40
	v_fmac_f16_e32 v41, v6, v20
	v_fma_f16 v6, v6, v34, -v42
	v_fmac_f16_e32 v43, v7, v22
	v_fma_f16 v7, v7, v35, -v44
	v_fmac_f16_e32 v45, v14, v25
	v_fma_f16 v14, v14, v36, -v46
	v_fmac_f16_e32 v47, v19, v15
	v_fma_f16 v15, v29, v15, -v48
	v_fmac_f16_e32 v49, v21, v16
	v_fma_f16 v16, v30, v16, -v50
	v_fmac_f16_e32 v51, v23, v17
	v_fma_f16 v17, v31, v17, -v52
	v_add_f16_e32 v19, v39, v41
	v_sub_f16_e32 v22, v37, v39
	v_sub_f16_e32 v23, v43, v41
	v_add_f16_e32 v24, v37, v43
	v_sub_f16_e32 v25, v39, v37
	v_sub_f16_e32 v29, v41, v43
	v_add_f16_e32 v30, v27, v4
	v_add_f16_e32 v31, v5, v6
	v_sub_f16_e32 v34, v4, v5
	v_sub_f16_e32 v35, v7, v6
	v_add_f16_e32 v40, v47, v49
	v_add_f16_e32 v54, v28, v14
	;; [unrolled: 1-line block ×8, first 2 shown]
	v_sub_f16_e32 v20, v4, v7
	v_sub_f16_e32 v21, v5, v6
	;; [unrolled: 1-line block ×12, first 2 shown]
	v_fma_f16 v19, -0.5, v19, v9
	v_add_f16_e32 v22, v22, v23
	v_fma_f16 v9, -0.5, v24, v9
	v_add_f16_e32 v23, v25, v29
	v_add_f16_e32 v5, v30, v5
	v_fma_f16 v24, -0.5, v31, v27
	v_add_f16_e32 v25, v34, v35
	v_fma_f16 v30, -0.5, v40, v10
	;; [unrolled: 2-line block ×3, first 2 shown]
	v_sub_f16_e32 v33, v39, v41
	v_sub_f16_e32 v48, v51, v49
	;; [unrolled: 1-line block ×3, first 2 shown]
	v_add_f16_e32 v18, v18, v39
	v_fmac_f16_e32 v27, -0.5, v36
	v_fmac_f16_e32 v10, -0.5, v50
	;; [unrolled: 1-line block ×3, first 2 shown]
	v_add_f16_e32 v29, v38, v47
	v_sub_f16_e32 v58, v17, v16
	v_sub_f16_e32 v60, v16, v17
	v_add_f16_e32 v4, v4, v37
	v_fmamk_f16 v37, v20, 0xbb9c, v19
	v_add_f16_e32 v5, v5, v6
	v_fmamk_f16 v6, v32, 0x3b9c, v24
	v_fmamk_f16 v40, v42, 0xbb9c, v30
	v_add_f16_e32 v15, v15, v16
	v_fmamk_f16 v16, v45, 0x3b9c, v35
	v_sub_f16_e32 v53, v49, v51
	v_add_f16_e32 v31, v46, v48
	v_add_f16_e32 v18, v18, v41
	v_fmamk_f16 v38, v21, 0x3b9c, v9
	v_fmamk_f16 v39, v33, 0xbb9c, v27
	;; [unrolled: 1-line block ×4, first 2 shown]
	v_fmac_f16_e32 v9, 0xbb9c, v21
	v_fmac_f16_e32 v27, 0x3b9c, v33
	;; [unrolled: 1-line block ×8, first 2 shown]
	v_add_f16_e32 v29, v29, v49
	v_add_f16_e32 v36, v57, v58
	v_fmac_f16_e32 v37, 0xb8b4, v21
	v_fmac_f16_e32 v6, 0x38b4, v33
	;; [unrolled: 1-line block ×4, first 2 shown]
	v_add_f16_e32 v34, v52, v53
	v_add_f16_e32 v14, v14, v60
	v_fmac_f16_e32 v38, 0xb8b4, v20
	v_fmac_f16_e32 v39, 0x38b4, v32
	;; [unrolled: 1-line block ×12, first 2 shown]
	v_add_f16_e32 v18, v18, v43
	v_add_f16_e32 v5, v5, v7
	;; [unrolled: 1-line block ×4, first 2 shown]
	v_fmac_f16_e32 v37, 0x34f2, v22
	v_fmac_f16_e32 v6, 0x34f2, v25
	;; [unrolled: 1-line block ×16, first 2 shown]
	v_pack_b32_f16 v4, v18, v5
	v_pack_b32_f16 v5, v7, v15
	;; [unrolled: 1-line block ×10, first 2 shown]
	ds_write2_b32 v26, v4, v5 offset1:110
	ds_write2_b32 v3, v6, v15 offset0:92 offset1:202
	ds_write2_b32 v0, v7, v16 offset0:56 offset1:166
	;; [unrolled: 1-line block ×4, first 2 shown]
	s_waitcnt lgkmcnt(0)
	s_barrier
	buffer_gl0_inv
	s_and_saveexec_b32 s0, vcc_lo
	s_cbranch_execz .LBB0_23
; %bb.22:
	v_lshl_add_u32 v16, v8, 2, 0
	v_mov_b32_e32 v9, v11
	v_add_nc_u32_e32 v10, 0x6e, v8
	v_add_co_u32 v18, vcc_lo, s2, v12
	ds_read2_b32 v[0:1], v16 offset1:110
	v_lshlrev_b64 v[2:3], 2, v[8:9]
	v_lshlrev_b64 v[4:5], 2, v[10:11]
	v_add_co_ci_u32_e32 v19, vcc_lo, s3, v13, vcc_lo
	v_add_nc_u32_e32 v10, 0xdc, v8
	v_add_nc_u32_e32 v9, 0x200, v16
	v_add_co_u32 v2, vcc_lo, v18, v2
	v_add_co_ci_u32_e32 v3, vcc_lo, v19, v3, vcc_lo
	v_add_co_u32 v4, vcc_lo, v18, v4
	v_add_co_ci_u32_e32 v5, vcc_lo, v19, v5, vcc_lo
	v_add_nc_u32_e32 v14, 0x600, v16
	v_lshlrev_b64 v[6:7], 2, v[10:11]
	v_add_nc_u32_e32 v10, 0x14a, v8
	ds_read2_b32 v[12:13], v9 offset0:92 offset1:202
	v_add_nc_u32_e32 v9, 0xc00, v16
	s_waitcnt lgkmcnt(1)
	global_store_dword v[2:3], v0, off
	global_store_dword v[4:5], v1, off
	ds_read2_b32 v[2:3], v14 offset0:56 offset1:166
	v_lshlrev_b64 v[0:1], 2, v[10:11]
	v_add_nc_u32_e32 v10, 0x1b8, v8
	v_add_co_u32 v4, vcc_lo, v18, v6
	v_add_co_ci_u32_e32 v5, vcc_lo, v19, v7, vcc_lo
	v_lshlrev_b64 v[6:7], 2, v[10:11]
	v_add_nc_u32_e32 v10, 0x226, v8
	v_add_co_u32 v0, vcc_lo, v18, v0
	v_add_co_ci_u32_e32 v1, vcc_lo, v19, v1, vcc_lo
	v_add_co_u32 v6, vcc_lo, v18, v6
	v_lshlrev_b64 v[14:15], 2, v[10:11]
	v_add_nc_u32_e32 v10, 0x294, v8
	v_add_co_ci_u32_e32 v7, vcc_lo, v19, v7, vcc_lo
	s_waitcnt lgkmcnt(1)
	global_store_dword v[4:5], v12, off
	global_store_dword v[0:1], v13, off
	s_waitcnt lgkmcnt(0)
	global_store_dword v[6:7], v2, off
	v_add_nc_u32_e32 v2, 0xa00, v16
	v_lshlrev_b64 v[0:1], 2, v[10:11]
	v_add_nc_u32_e32 v10, 0x302, v8
	v_add_co_u32 v4, vcc_lo, v18, v14
	ds_read2_b32 v[6:7], v2 offset0:20 offset1:130
	v_add_co_ci_u32_e32 v5, vcc_lo, v19, v15, vcc_lo
	v_lshlrev_b64 v[12:13], 2, v[10:11]
	v_add_nc_u32_e32 v10, 0x370, v8
	ds_read2_b32 v[14:15], v9 offset0:112 offset1:222
	v_add_co_u32 v0, vcc_lo, v18, v0
	v_add_co_ci_u32_e32 v1, vcc_lo, v19, v1, vcc_lo
	v_lshlrev_b64 v[16:17], 2, v[10:11]
	v_add_nc_u32_e32 v10, 0x3de, v8
	v_add_co_u32 v8, vcc_lo, v18, v12
	v_add_co_ci_u32_e32 v9, vcc_lo, v19, v13, vcc_lo
	v_lshlrev_b64 v[10:11], 2, v[10:11]
	v_add_co_u32 v12, vcc_lo, v18, v16
	v_add_co_ci_u32_e32 v13, vcc_lo, v19, v17, vcc_lo
	v_add_co_u32 v10, vcc_lo, v18, v10
	v_add_co_ci_u32_e32 v11, vcc_lo, v19, v11, vcc_lo
	global_store_dword v[4:5], v3, off
	s_waitcnt lgkmcnt(1)
	global_store_dword v[0:1], v6, off
	global_store_dword v[8:9], v7, off
	s_waitcnt lgkmcnt(0)
	global_store_dword v[12:13], v14, off
	global_store_dword v[10:11], v15, off
.LBB0_23:
	s_endpgm
	.section	.rodata,"a",@progbits
	.p2align	6, 0x0
	.amdhsa_kernel fft_rtc_back_len1100_factors_2_2_11_5_5_wgs_110_tpt_110_half_ip_CI_unitstride_sbrr_C2R_dirReg
		.amdhsa_group_segment_fixed_size 0
		.amdhsa_private_segment_fixed_size 0
		.amdhsa_kernarg_size 88
		.amdhsa_user_sgpr_count 6
		.amdhsa_user_sgpr_private_segment_buffer 1
		.amdhsa_user_sgpr_dispatch_ptr 0
		.amdhsa_user_sgpr_queue_ptr 0
		.amdhsa_user_sgpr_kernarg_segment_ptr 1
		.amdhsa_user_sgpr_dispatch_id 0
		.amdhsa_user_sgpr_flat_scratch_init 0
		.amdhsa_user_sgpr_private_segment_size 0
		.amdhsa_wavefront_size32 1
		.amdhsa_uses_dynamic_stack 0
		.amdhsa_system_sgpr_private_segment_wavefront_offset 0
		.amdhsa_system_sgpr_workgroup_id_x 1
		.amdhsa_system_sgpr_workgroup_id_y 0
		.amdhsa_system_sgpr_workgroup_id_z 0
		.amdhsa_system_sgpr_workgroup_info 0
		.amdhsa_system_vgpr_workitem_id 0
		.amdhsa_next_free_vgpr 126
		.amdhsa_next_free_sgpr 21
		.amdhsa_reserve_vcc 1
		.amdhsa_reserve_flat_scratch 0
		.amdhsa_float_round_mode_32 0
		.amdhsa_float_round_mode_16_64 0
		.amdhsa_float_denorm_mode_32 3
		.amdhsa_float_denorm_mode_16_64 3
		.amdhsa_dx10_clamp 1
		.amdhsa_ieee_mode 1
		.amdhsa_fp16_overflow 0
		.amdhsa_workgroup_processor_mode 1
		.amdhsa_memory_ordered 1
		.amdhsa_forward_progress 0
		.amdhsa_shared_vgpr_count 0
		.amdhsa_exception_fp_ieee_invalid_op 0
		.amdhsa_exception_fp_denorm_src 0
		.amdhsa_exception_fp_ieee_div_zero 0
		.amdhsa_exception_fp_ieee_overflow 0
		.amdhsa_exception_fp_ieee_underflow 0
		.amdhsa_exception_fp_ieee_inexact 0
		.amdhsa_exception_int_div_zero 0
	.end_amdhsa_kernel
	.text
.Lfunc_end0:
	.size	fft_rtc_back_len1100_factors_2_2_11_5_5_wgs_110_tpt_110_half_ip_CI_unitstride_sbrr_C2R_dirReg, .Lfunc_end0-fft_rtc_back_len1100_factors_2_2_11_5_5_wgs_110_tpt_110_half_ip_CI_unitstride_sbrr_C2R_dirReg
                                        ; -- End function
	.section	.AMDGPU.csdata,"",@progbits
; Kernel info:
; codeLenInByte = 8900
; NumSgprs: 23
; NumVgprs: 126
; ScratchSize: 0
; MemoryBound: 0
; FloatMode: 240
; IeeeMode: 1
; LDSByteSize: 0 bytes/workgroup (compile time only)
; SGPRBlocks: 2
; VGPRBlocks: 15
; NumSGPRsForWavesPerEU: 23
; NumVGPRsForWavesPerEU: 126
; Occupancy: 8
; WaveLimiterHint : 1
; COMPUTE_PGM_RSRC2:SCRATCH_EN: 0
; COMPUTE_PGM_RSRC2:USER_SGPR: 6
; COMPUTE_PGM_RSRC2:TRAP_HANDLER: 0
; COMPUTE_PGM_RSRC2:TGID_X_EN: 1
; COMPUTE_PGM_RSRC2:TGID_Y_EN: 0
; COMPUTE_PGM_RSRC2:TGID_Z_EN: 0
; COMPUTE_PGM_RSRC2:TIDIG_COMP_CNT: 0
	.text
	.p2alignl 6, 3214868480
	.fill 48, 4, 3214868480
	.type	__hip_cuid_53dc34c211194587,@object ; @__hip_cuid_53dc34c211194587
	.section	.bss,"aw",@nobits
	.globl	__hip_cuid_53dc34c211194587
__hip_cuid_53dc34c211194587:
	.byte	0                               ; 0x0
	.size	__hip_cuid_53dc34c211194587, 1

	.ident	"AMD clang version 19.0.0git (https://github.com/RadeonOpenCompute/llvm-project roc-6.4.0 25133 c7fe45cf4b819c5991fe208aaa96edf142730f1d)"
	.section	".note.GNU-stack","",@progbits
	.addrsig
	.addrsig_sym __hip_cuid_53dc34c211194587
	.amdgpu_metadata
---
amdhsa.kernels:
  - .args:
      - .actual_access:  read_only
        .address_space:  global
        .offset:         0
        .size:           8
        .value_kind:     global_buffer
      - .offset:         8
        .size:           8
        .value_kind:     by_value
      - .actual_access:  read_only
        .address_space:  global
        .offset:         16
        .size:           8
        .value_kind:     global_buffer
      - .actual_access:  read_only
        .address_space:  global
        .offset:         24
        .size:           8
        .value_kind:     global_buffer
      - .offset:         32
        .size:           8
        .value_kind:     by_value
      - .actual_access:  read_only
        .address_space:  global
        .offset:         40
        .size:           8
        .value_kind:     global_buffer
      - .actual_access:  read_only
        .address_space:  global
        .offset:         48
        .size:           8
        .value_kind:     global_buffer
      - .offset:         56
        .size:           4
        .value_kind:     by_value
      - .actual_access:  read_only
        .address_space:  global
        .offset:         64
        .size:           8
        .value_kind:     global_buffer
      - .actual_access:  read_only
        .address_space:  global
        .offset:         72
        .size:           8
        .value_kind:     global_buffer
      - .address_space:  global
        .offset:         80
        .size:           8
        .value_kind:     global_buffer
    .group_segment_fixed_size: 0
    .kernarg_segment_align: 8
    .kernarg_segment_size: 88
    .language:       OpenCL C
    .language_version:
      - 2
      - 0
    .max_flat_workgroup_size: 110
    .name:           fft_rtc_back_len1100_factors_2_2_11_5_5_wgs_110_tpt_110_half_ip_CI_unitstride_sbrr_C2R_dirReg
    .private_segment_fixed_size: 0
    .sgpr_count:     23
    .sgpr_spill_count: 0
    .symbol:         fft_rtc_back_len1100_factors_2_2_11_5_5_wgs_110_tpt_110_half_ip_CI_unitstride_sbrr_C2R_dirReg.kd
    .uniform_work_group_size: 1
    .uses_dynamic_stack: false
    .vgpr_count:     126
    .vgpr_spill_count: 0
    .wavefront_size: 32
    .workgroup_processor_mode: 1
amdhsa.target:   amdgcn-amd-amdhsa--gfx1030
amdhsa.version:
  - 1
  - 2
...

	.end_amdgpu_metadata
